;; amdgpu-corpus repo=ROCm/rocFFT kind=compiled arch=gfx950 opt=O3
	.text
	.amdgcn_target "amdgcn-amd-amdhsa--gfx950"
	.amdhsa_code_object_version 6
	.protected	bluestein_single_back_len270_dim1_dp_op_CI_CI ; -- Begin function bluestein_single_back_len270_dim1_dp_op_CI_CI
	.globl	bluestein_single_back_len270_dim1_dp_op_CI_CI
	.p2align	8
	.type	bluestein_single_back_len270_dim1_dp_op_CI_CI,@function
bluestein_single_back_len270_dim1_dp_op_CI_CI: ; @bluestein_single_back_len270_dim1_dp_op_CI_CI
; %bb.0:
	s_load_dwordx4 s[16:19], s[0:1], 0x28
	v_mul_u32_u24_e32 v1, 0x97c, v0
	v_lshrrev_b32_e32 v52, 16, v1
	v_mov_b32_e32 v185, 0
	v_lshl_add_u32 v186, s2, 2, v52
	v_mov_b32_e32 v187, v185
	s_waitcnt lgkmcnt(0)
	v_cmp_gt_u64_e32 vcc, s[16:17], v[186:187]
	s_and_saveexec_b64 s[2:3], vcc
	s_cbranch_execz .LBB0_26
; %bb.1:
	s_load_dwordx4 s[4:7], s[0:1], 0x18
	s_load_dwordx4 s[8:11], s[0:1], 0x0
	v_mul_lo_u16_e32 v1, 27, v52
	v_sub_u16_e32 v184, v0, v1
	v_mov_b32_e32 v2, s18
	s_waitcnt lgkmcnt(0)
	s_load_dwordx4 s[12:15], s[4:5], 0x0
	v_mov_b32_e32 v3, s19
	v_mov_b32_e32 v38, 0x1b0
	v_lshlrev_b32_e32 v53, 4, v184
	global_load_dwordx4 v[32:35], v53, s[8:9]
	s_waitcnt lgkmcnt(0)
	v_mad_u64_u32 v[0:1], s[2:3], s14, v186, 0
	v_mov_b32_e32 v4, v1
	v_mad_u64_u32 v[4:5], s[2:3], s15, v186, v[4:5]
	v_mov_b32_e32 v1, v4
	;; [unrolled: 2-line block ×4, first 2 shown]
	v_lshl_add_u64 v[0:1], v[0:1], 4, v[2:3]
	v_lshl_add_u64 v[0:1], v[4:5], 4, v[0:1]
	global_load_dwordx4 v[40:43], v[0:1], off
	v_mad_u64_u32 v[0:1], s[2:3], s12, v38, v[0:1]
	s_mul_i32 s2, s13, 0x1b0
	s_nop 0
	v_add_u32_e32 v1, s2, v1
	global_load_dwordx4 v[28:31], v53, s[8:9] offset:432
	global_load_dwordx4 v[44:47], v[0:1], off
	v_mad_u64_u32 v[0:1], s[4:5], s12, v38, v[0:1]
	v_add_u32_e32 v1, s2, v1
	global_load_dwordx4 v[48:51], v[0:1], off
	global_load_dwordx4 v[16:19], v53, s[8:9] offset:864
	v_mad_u64_u32 v[4:5], s[4:5], s12, v38, v[0:1]
	v_add_u32_e32 v5, s2, v5
	global_load_dwordx4 v[0:3], v53, s[8:9] offset:1296
	global_load_dwordx4 v[54:57], v[4:5], off
	v_mad_u64_u32 v[8:9], s[4:5], s12, v38, v[4:5]
	v_add_u32_e32 v9, s2, v9
	global_load_dwordx4 v[58:61], v[8:9], off
	global_load_dwordx4 v[4:7], v53, s[8:9] offset:1728
	v_mad_u64_u32 v[12:13], s[4:5], s12, v38, v[8:9]
	v_add_u32_e32 v13, s2, v13
	global_load_dwordx4 v[62:65], v[12:13], off
	global_load_dwordx4 v[8:11], v53, s[8:9] offset:2160
	;; [unrolled: 4-line block ×5, first 2 shown]
	v_mad_u64_u32 v[82:83], s[4:5], s12, v38, v[36:37]
	v_add_u32_e32 v83, s2, v83
	global_load_dwordx4 v[36:39], v53, s[8:9] offset:3888
	global_load_dwordx4 v[78:81], v[82:83], off
	v_and_b32_e32 v52, 3, v52
	v_mul_u32_u24_e32 v52, 0x10e, v52
	v_lshlrev_b32_e32 v196, 4, v52
	v_add_u32_e32 v187, v196, v53
	s_load_dwordx4 s[4:7], s[6:7], 0x0
	s_mov_b32 s16, 0x134454ff
	s_mov_b32 s17, 0x3fee6f0e
	;; [unrolled: 1-line block ×5, first 2 shown]
	s_load_dwordx2 s[2:3], s[0:1], 0x38
	s_mov_b32 s19, 0x3fe2cf23
	s_mov_b32 s0, 0x372fe950
	;; [unrolled: 1-line block ×7, first 2 shown]
	v_cmp_gt_u16_e32 vcc, 9, v184
	s_waitcnt vmcnt(18)
	v_mul_f64 v[82:83], v[42:43], v[34:35]
	v_mul_f64 v[52:53], v[40:41], v[34:35]
	v_fmac_f64_e32 v[82:83], v[40:41], v[32:33]
	v_fma_f64 v[84:85], v[42:43], v[32:33], -v[52:53]
	ds_write_b128 v187, v[82:85]
	s_waitcnt vmcnt(16)
	v_mul_f64 v[40:41], v[46:47], v[30:31]
	v_mul_f64 v[42:43], v[44:45], v[30:31]
	v_fmac_f64_e32 v[40:41], v[44:45], v[28:29]
	v_fma_f64 v[42:43], v[46:47], v[28:29], -v[42:43]
	ds_write_b128 v187, v[40:43] offset:432
	s_waitcnt vmcnt(14)
	v_mul_f64 v[40:41], v[50:51], v[18:19]
	v_mul_f64 v[42:43], v[48:49], v[18:19]
	v_fmac_f64_e32 v[40:41], v[48:49], v[16:17]
	v_fma_f64 v[42:43], v[50:51], v[16:17], -v[42:43]
	ds_write_b128 v187, v[40:43] offset:864
	;; [unrolled: 6-line block ×9, first 2 shown]
	s_waitcnt lgkmcnt(0)
	s_barrier
	ds_read_b128 v[40:43], v187
	ds_read_b128 v[44:47], v187 offset:432
	ds_read_b128 v[78:81], v187 offset:864
	;; [unrolled: 1-line block ×9, first 2 shown]
	s_waitcnt lgkmcnt(7)
	v_add_f64 v[64:65], v[40:41], v[78:79]
	s_waitcnt lgkmcnt(5)
	v_add_f64 v[64:65], v[64:65], v[82:83]
	s_waitcnt lgkmcnt(3)
	v_add_f64 v[64:65], v[64:65], v[86:87]
	s_waitcnt lgkmcnt(1)
	v_add_f64 v[66:67], v[64:65], v[90:91]
	v_add_f64 v[64:65], v[82:83], v[86:87]
	v_fma_f64 v[64:65], -0.5, v[64:65], v[40:41]
	v_add_f64 v[70:71], v[80:81], -v[92:93]
	v_fma_f64 v[68:69], s[16:17], v[70:71], v[64:65]
	v_add_f64 v[74:75], v[84:85], -v[88:89]
	v_add_f64 v[72:73], v[78:79], -v[82:83]
	;; [unrolled: 1-line block ×3, first 2 shown]
	v_fmac_f64_e32 v[64:65], s[14:15], v[70:71]
	v_fmac_f64_e32 v[68:69], s[18:19], v[74:75]
	v_add_f64 v[72:73], v[72:73], v[76:77]
	v_fmac_f64_e32 v[64:65], s[12:13], v[74:75]
	v_fmac_f64_e32 v[68:69], s[0:1], v[72:73]
	v_fmac_f64_e32 v[64:65], s[0:1], v[72:73]
	v_add_f64 v[72:73], v[78:79], v[90:91]
	v_fmac_f64_e32 v[40:41], -0.5, v[72:73]
	v_fma_f64 v[72:73], s[14:15], v[74:75], v[40:41]
	v_fmac_f64_e32 v[40:41], s[16:17], v[74:75]
	v_fmac_f64_e32 v[72:73], s[18:19], v[70:71]
	;; [unrolled: 1-line block ×3, first 2 shown]
	v_add_f64 v[70:71], v[42:43], v[80:81]
	v_add_f64 v[70:71], v[70:71], v[84:85]
	;; [unrolled: 1-line block ×3, first 2 shown]
	v_add_f64 v[76:77], v[82:83], -v[78:79]
	v_add_f64 v[94:95], v[86:87], -v[90:91]
	v_add_f64 v[74:75], v[70:71], v[92:93]
	v_add_f64 v[70:71], v[84:85], v[88:89]
	;; [unrolled: 1-line block ×3, first 2 shown]
	v_fma_f64 v[70:71], -0.5, v[70:71], v[42:43]
	v_add_f64 v[90:91], v[78:79], -v[90:91]
	v_fmac_f64_e32 v[72:73], s[0:1], v[76:77]
	v_fmac_f64_e32 v[40:41], s[0:1], v[76:77]
	v_fma_f64 v[76:77], s[14:15], v[90:91], v[70:71]
	v_add_f64 v[82:83], v[82:83], -v[86:87]
	v_add_f64 v[78:79], v[80:81], -v[84:85]
	;; [unrolled: 1-line block ×3, first 2 shown]
	v_fmac_f64_e32 v[70:71], s[16:17], v[90:91]
	v_fmac_f64_e32 v[76:77], s[12:13], v[82:83]
	v_add_f64 v[78:79], v[78:79], v[86:87]
	v_fmac_f64_e32 v[70:71], s[18:19], v[82:83]
	v_fmac_f64_e32 v[76:77], s[0:1], v[78:79]
	;; [unrolled: 1-line block ×3, first 2 shown]
	v_add_f64 v[78:79], v[80:81], v[92:93]
	v_fmac_f64_e32 v[42:43], -0.5, v[78:79]
	v_fma_f64 v[78:79], s[16:17], v[82:83], v[42:43]
	v_add_f64 v[80:81], v[84:85], -v[80:81]
	v_add_f64 v[84:85], v[88:89], -v[92:93]
	v_fmac_f64_e32 v[42:43], s[14:15], v[82:83]
	v_add_f64 v[82:83], v[52:53], v[56:57]
	v_add_f64 v[80:81], v[80:81], v[84:85]
	v_fma_f64 v[82:83], -0.5, v[82:83], v[44:45]
	s_waitcnt lgkmcnt(0)
	v_add_f64 v[84:85], v[50:51], -v[62:63]
	v_fmac_f64_e32 v[78:79], s[12:13], v[90:91]
	v_fmac_f64_e32 v[42:43], s[18:19], v[90:91]
	v_fma_f64 v[86:87], s[16:17], v[84:85], v[82:83]
	v_add_f64 v[88:89], v[54:55], -v[58:59]
	v_add_f64 v[90:91], v[48:49], -v[52:53]
	;; [unrolled: 1-line block ×3, first 2 shown]
	v_fmac_f64_e32 v[82:83], s[14:15], v[84:85]
	v_fmac_f64_e32 v[86:87], s[18:19], v[88:89]
	v_add_f64 v[90:91], v[90:91], v[92:93]
	v_fmac_f64_e32 v[82:83], s[12:13], v[88:89]
	v_fmac_f64_e32 v[86:87], s[0:1], v[90:91]
	;; [unrolled: 1-line block ×3, first 2 shown]
	v_add_f64 v[90:91], v[48:49], v[60:61]
	v_fmac_f64_e32 v[78:79], s[0:1], v[80:81]
	v_fmac_f64_e32 v[42:43], s[0:1], v[80:81]
	v_add_f64 v[80:81], v[44:45], v[48:49]
	v_fmac_f64_e32 v[44:45], -0.5, v[90:91]
	v_fma_f64 v[90:91], s[14:15], v[88:89], v[44:45]
	v_fmac_f64_e32 v[44:45], s[16:17], v[88:89]
	v_fmac_f64_e32 v[90:91], s[18:19], v[84:85]
	;; [unrolled: 1-line block ×3, first 2 shown]
	v_add_f64 v[84:85], v[46:47], v[50:51]
	v_add_f64 v[84:85], v[84:85], v[54:55]
	v_add_f64 v[92:93], v[52:53], -v[48:49]
	v_add_f64 v[94:95], v[56:57], -v[60:61]
	v_add_f64 v[84:85], v[84:85], v[58:59]
	v_add_f64 v[80:81], v[80:81], v[52:53]
	;; [unrolled: 1-line block ×6, first 2 shown]
	v_fmac_f64_e32 v[90:91], s[0:1], v[92:93]
	v_fmac_f64_e32 v[44:45], s[0:1], v[92:93]
	v_fma_f64 v[92:93], -0.5, v[84:85], v[46:47]
	v_add_f64 v[48:49], v[48:49], -v[60:61]
	v_add_f64 v[80:81], v[80:81], v[60:61]
	v_fma_f64 v[94:95], s[14:15], v[48:49], v[92:93]
	v_add_f64 v[52:53], v[52:53], -v[56:57]
	v_add_f64 v[56:57], v[50:51], -v[54:55]
	;; [unrolled: 1-line block ×3, first 2 shown]
	v_fmac_f64_e32 v[92:93], s[16:17], v[48:49]
	v_fmac_f64_e32 v[94:95], s[12:13], v[52:53]
	v_add_f64 v[56:57], v[56:57], v[60:61]
	v_fmac_f64_e32 v[92:93], s[18:19], v[52:53]
	v_fmac_f64_e32 v[94:95], s[0:1], v[56:57]
	;; [unrolled: 1-line block ×3, first 2 shown]
	v_add_f64 v[56:57], v[50:51], v[62:63]
	v_fmac_f64_e32 v[46:47], -0.5, v[56:57]
	v_fma_f64 v[96:97], s[16:17], v[52:53], v[46:47]
	v_add_f64 v[50:51], v[54:55], -v[50:51]
	v_add_f64 v[54:55], v[58:59], -v[62:63]
	v_fmac_f64_e32 v[46:47], s[14:15], v[52:53]
	v_fmac_f64_e32 v[96:97], s[12:13], v[48:49]
	v_add_f64 v[50:51], v[50:51], v[54:55]
	v_fmac_f64_e32 v[46:47], s[18:19], v[48:49]
	v_fmac_f64_e32 v[96:97], s[0:1], v[50:51]
	v_fmac_f64_e32 v[46:47], s[0:1], v[50:51]
	v_mul_f64 v[50:51], v[44:45], s[0:1]
	v_mul_f64 v[98:99], v[86:87], s[20:21]
	;; [unrolled: 1-line block ×3, first 2 shown]
	v_fma_f64 v[102:103], v[46:47], s[16:17], -v[50:51]
	v_mul_f64 v[50:51], v[82:83], s[20:21]
	v_mul_f64 v[106:107], v[86:87], s[12:13]
	;; [unrolled: 1-line block ×3, first 2 shown]
	v_fmac_f64_e32 v[98:99], s[18:19], v[94:95]
	v_fmac_f64_e32 v[100:101], s[0:1], v[90:91]
	v_fma_f64 v[104:105], v[92:93], s[18:19], -v[50:51]
	v_fmac_f64_e32 v[106:107], s[20:21], v[94:95]
	v_mul_f64 v[90:91], v[90:91], s[14:15]
	v_fma_f64 v[94:95], v[44:45], s[14:15], -v[46:47]
	v_mul_f64 v[44:45], v[92:93], s[20:21]
	v_add_f64 v[84:85], v[64:65], v[104:105]
	v_fmac_f64_e32 v[90:91], s[0:1], v[96:97]
	v_fma_f64 v[82:83], v[82:83], s[12:13], -v[44:45]
	v_add_f64 v[96:97], v[64:65], -v[104:105]
	v_mul_lo_u16_e32 v64, 10, v184
	v_add_f64 v[48:49], v[66:67], v[80:81]
	v_add_f64 v[56:57], v[72:73], v[100:101]
	;; [unrolled: 1-line block ×4, first 2 shown]
	v_add_f64 v[72:73], v[72:73], -v[100:101]
	v_add_f64 v[46:47], v[74:75], -v[88:89]
	v_add_f64 v[74:75], v[78:79], -v[90:91]
	v_lshl_add_u32 v198, v64, 4, v196
	v_add_f64 v[52:53], v[68:69], v[98:99]
	v_add_f64 v[60:61], v[40:41], v[102:103]
	;; [unrolled: 1-line block ×5, first 2 shown]
	v_add_f64 v[44:45], v[66:67], -v[80:81]
	v_add_f64 v[66:67], v[68:69], -v[98:99]
	;; [unrolled: 1-line block ×6, first 2 shown]
	s_barrier
	ds_write_b128 v198, v[48:51]
	ds_write_b128 v198, v[52:55] offset:16
	ds_write_b128 v198, v[56:59] offset:32
	;; [unrolled: 1-line block ×9, first 2 shown]
	s_waitcnt lgkmcnt(0)
	s_barrier
	ds_read_b128 v[80:83], v187
	ds_read_b128 v[76:79], v187 offset:432
	ds_read_b128 v[84:87], v187 offset:2880
	ds_read_b128 v[104:107], v187 offset:3312
	ds_read_b128 v[88:91], v187 offset:1440
	ds_read_b128 v[72:75], v187 offset:864
	ds_read_b128 v[116:119], v187 offset:1872
	ds_read_b128 v[112:115], v187 offset:2304
	ds_read_b128 v[108:111], v187 offset:3744
                                        ; implicit-def: $vgpr92_vgpr93
                                        ; implicit-def: $vgpr100_vgpr101
	s_and_saveexec_b64 s[0:1], vcc
	s_cbranch_execz .LBB0_3
; %bb.2:
	ds_read_b128 v[96:99], v187 offset:1296
	ds_read_b128 v[92:95], v187 offset:2736
	;; [unrolled: 1-line block ×3, first 2 shown]
.LBB0_3:
	s_or_b64 exec, exec, s[0:1]
	v_lshl_add_u64 v[190:191], v[184:185], 0, 27
	s_movk_i32 s12, 0xcd
	v_mul_lo_u16_sdwa v40, v190, s12 dst_sel:DWORD dst_unused:UNUSED_PAD src0_sel:BYTE_0 src1_sel:DWORD
	v_lshrrev_b16_e32 v140, 11, v40
	v_mul_lo_u16_e32 v40, 10, v140
	v_sub_u16_e32 v141, v190, v40
	v_mov_b32_e32 v48, 5
	v_lshl_add_u64 v[188:189], v[184:185], 0, 54
	v_lshlrev_b32_sdwa v49, v48, v141 dst_sel:DWORD dst_unused:UNUSED_PAD src0_sel:DWORD src1_sel:BYTE_0
	global_load_dwordx4 v[40:43], v49, s[10:11] offset:16
	global_load_dwordx4 v[44:47], v49, s[10:11]
	v_mul_lo_u16_sdwa v49, v188, s12 dst_sel:DWORD dst_unused:UNUSED_PAD src0_sel:BYTE_0 src1_sel:DWORD
	v_lshrrev_b16_e32 v142, 11, v49
	v_mul_lo_u16_e32 v49, 10, v142
	v_sub_u16_e32 v143, v188, v49
	v_lshlrev_b32_sdwa v56, v48, v143 dst_sel:DWORD dst_unused:UNUSED_PAD src0_sel:DWORD src1_sel:BYTE_0
	s_mov_b64 s[0:1], 0x51
	global_load_dwordx4 v[52:55], v56, s[10:11]
	global_load_dwordx4 v[48:51], v56, s[10:11] offset:16
	v_mul_lo_u16_sdwa v56, v184, s12 dst_sel:DWORD dst_unused:UNUSED_PAD src0_sel:BYTE_0 src1_sel:DWORD
	v_lshl_add_u64 v[192:193], v[184:185], 0, s[0:1]
	v_lshrrev_b16_e32 v144, 11, v56
	v_mul_lo_u16_sdwa v64, v192, s12 dst_sel:DWORD dst_unused:UNUSED_PAD src0_sel:BYTE_0 src1_sel:DWORD
	v_mul_lo_u16_e32 v56, 10, v144
	v_lshrrev_b16_e32 v64, 11, v64
	v_sub_u16_e32 v145, v184, v56
	v_mul_lo_u16_e32 v64, 10, v64
	v_lshlrev_b16_e32 v56, 1, v145
	v_sub_u16_e32 v197, v192, v64
	v_and_b32_e32 v56, 0xfe, v56
	v_lshlrev_b16_e32 v64, 1, v197
	v_lshlrev_b32_e32 v60, 4, v56
	v_and_b32_e32 v64, 0xfe, v64
	global_load_dwordx4 v[56:59], v60, s[10:11] offset:16
	s_nop 0
	global_load_dwordx4 v[60:63], v60, s[10:11]
	v_lshlrev_b32_e32 v64, 4, v64
	global_load_dwordx4 v[68:71], v64, s[10:11]
	s_nop 0
	global_load_dwordx4 v[64:67], v64, s[10:11] offset:16
	s_mov_b32 s0, 0xe8584caa
	s_mov_b32 s1, 0x3febb67a
	;; [unrolled: 1-line block ×4, first 2 shown]
	s_waitcnt lgkmcnt(0)
	s_barrier
	s_waitcnt vmcnt(7)
	v_mul_f64 v[126:127], v[104:105], v[42:43]
	s_waitcnt vmcnt(6)
	v_mul_f64 v[120:121], v[118:119], v[46:47]
	v_mul_f64 v[122:123], v[116:117], v[46:47]
	;; [unrolled: 1-line block ×3, first 2 shown]
	v_fma_f64 v[116:117], v[116:117], v[44:45], -v[120:121]
	v_fmac_f64_e32 v[122:123], v[118:119], v[44:45]
	v_fmac_f64_e32 v[126:127], v[106:107], v[40:41]
	s_waitcnt vmcnt(5)
	v_mul_f64 v[130:131], v[112:113], v[54:55]
	s_waitcnt vmcnt(4)
	v_mul_f64 v[132:133], v[110:111], v[50:51]
	v_mul_f64 v[134:135], v[108:109], v[50:51]
	v_mul_f64 v[128:129], v[114:115], v[54:55]
	v_fmac_f64_e32 v[130:131], v[114:115], v[52:53]
	v_fma_f64 v[114:115], v[108:109], v[48:49], -v[132:133]
	v_fmac_f64_e32 v[134:135], v[110:111], v[48:49]
	v_fma_f64 v[104:105], v[104:105], v[40:41], -v[124:125]
	v_add_f64 v[120:121], v[76:77], v[116:117]
	v_fma_f64 v[112:113], v[112:113], v[52:53], -v[128:129]
	v_add_f64 v[124:125], v[116:117], v[104:105]
	v_fmac_f64_e32 v[76:77], -0.5, v[124:125]
	s_waitcnt vmcnt(3)
	v_mul_f64 v[110:111], v[86:87], v[58:59]
	s_waitcnt vmcnt(2)
	v_mul_f64 v[106:107], v[90:91], v[62:63]
	v_mul_f64 v[108:109], v[88:89], v[62:63]
	;; [unrolled: 1-line block ×3, first 2 shown]
	v_fma_f64 v[88:89], v[88:89], v[60:61], -v[106:107]
	v_fmac_f64_e32 v[108:109], v[90:91], v[60:61]
	v_fma_f64 v[90:91], v[84:85], v[56:57], -v[110:111]
	v_fmac_f64_e32 v[118:119], v[86:87], v[56:57]
	s_waitcnt vmcnt(1)
	v_mul_f64 v[86:87], v[94:95], v[70:71]
	s_waitcnt vmcnt(0)
	v_mul_f64 v[132:133], v[100:101], v[66:67]
	v_mul_f64 v[128:129], v[92:93], v[70:71]
	;; [unrolled: 1-line block ×3, first 2 shown]
	v_add_f64 v[84:85], v[120:121], v[104:105]
	v_fma_f64 v[120:121], v[92:93], v[68:69], -v[86:87]
	v_fmac_f64_e32 v[132:133], v[102:103], v[64:65]
	v_add_f64 v[86:87], v[80:81], v[88:89]
	v_add_f64 v[92:93], v[88:89], v[90:91]
	;; [unrolled: 1-line block ×3, first 2 shown]
	v_fmac_f64_e32 v[128:129], v[94:95], v[68:69]
	v_fma_f64 v[124:125], v[100:101], v[64:65], -v[106:107]
	v_add_f64 v[94:95], v[108:109], -v[118:119]
	v_add_f64 v[100:101], v[82:83], v[108:109]
	v_add_f64 v[106:107], v[88:89], -v[90:91]
	v_add_f64 v[88:89], v[86:87], v[90:91]
	v_fmac_f64_e32 v[80:81], -0.5, v[92:93]
	v_fmac_f64_e32 v[82:83], -0.5, v[102:103]
	v_add_f64 v[86:87], v[122:123], -v[126:127]
	v_add_f64 v[102:103], v[122:123], v[126:127]
	v_add_f64 v[90:91], v[100:101], v[118:119]
	v_fma_f64 v[92:93], s[0:1], v[94:95], v[80:81]
	v_fmac_f64_e32 v[80:81], s[12:13], v[94:95]
	v_fma_f64 v[94:95], s[12:13], v[106:107], v[82:83]
	v_fmac_f64_e32 v[82:83], s[0:1], v[106:107]
	;; [unrolled: 2-line block ×3, first 2 shown]
	v_add_f64 v[86:87], v[78:79], v[122:123]
	v_fmac_f64_e32 v[78:79], -0.5, v[102:103]
	v_add_f64 v[104:105], v[116:117], -v[104:105]
	v_add_f64 v[106:107], v[112:113], v[114:115]
	v_fma_f64 v[102:103], s[12:13], v[104:105], v[78:79]
	v_fmac_f64_e32 v[78:79], s[0:1], v[104:105]
	v_add_f64 v[104:105], v[72:73], v[112:113]
	v_fmac_f64_e32 v[72:73], -0.5, v[106:107]
	v_add_f64 v[106:107], v[130:131], -v[134:135]
	v_add_f64 v[110:111], v[130:131], v[134:135]
	v_fma_f64 v[108:109], s[0:1], v[106:107], v[72:73]
	v_fmac_f64_e32 v[72:73], s[12:13], v[106:107]
	v_add_f64 v[106:107], v[74:75], v[130:131]
	v_fmac_f64_e32 v[74:75], -0.5, v[110:111]
	v_add_f64 v[112:113], v[112:113], -v[114:115]
	v_fma_f64 v[110:111], s[12:13], v[112:113], v[74:75]
	v_fmac_f64_e32 v[74:75], s[0:1], v[112:113]
	v_add_f64 v[112:113], v[96:97], v[120:121]
	v_add_f64 v[136:137], v[112:113], v[124:125]
	;; [unrolled: 1-line block ×3, first 2 shown]
	v_fmac_f64_e32 v[96:97], -0.5, v[112:113]
	v_add_f64 v[112:113], v[128:129], -v[132:133]
	v_fma_f64 v[116:117], s[0:1], v[112:113], v[96:97]
	v_fmac_f64_e32 v[96:97], s[12:13], v[112:113]
	v_add_f64 v[112:113], v[98:99], v[128:129]
	v_add_f64 v[138:139], v[112:113], v[132:133]
	;; [unrolled: 1-line block ×3, first 2 shown]
	v_fmac_f64_e32 v[98:99], -0.5, v[112:113]
	v_add_f64 v[112:113], v[120:121], -v[124:125]
	v_fma_f64 v[118:119], s[12:13], v[112:113], v[98:99]
	v_fmac_f64_e32 v[98:99], s[0:1], v[112:113]
	v_mad_legacy_u16 v112, v144, 30, v145
	v_and_b32_e32 v112, 0xff, v112
	v_lshl_add_u32 v200, v112, 4, v196
	ds_write_b128 v200, v[88:91]
	ds_write_b128 v200, v[92:95] offset:160
	ds_write_b128 v200, v[80:83] offset:320
	v_mul_lo_u16_e32 v80, 30, v140
	v_and_b32_e32 v80, 0xfe, v80
	v_add_u32_sdwa v80, v80, v141 dst_sel:DWORD dst_unused:UNUSED_PAD src0_sel:DWORD src1_sel:BYTE_0
	v_add_f64 v[86:87], v[86:87], v[126:127]
	v_lshl_add_u32 v201, v80, 4, v196
	ds_write_b128 v201, v[84:87]
	ds_write_b128 v201, v[100:103] offset:160
	ds_write_b128 v201, v[76:79] offset:320
	v_mul_u32_u24_e32 v76, 30, v142
	v_add_u32_sdwa v76, v76, v143 dst_sel:DWORD dst_unused:UNUSED_PAD src0_sel:DWORD src1_sel:BYTE_0
	v_add_f64 v[104:105], v[104:105], v[114:115]
	v_add_f64 v[106:107], v[106:107], v[134:135]
	v_lshl_add_u32 v202, v76, 4, v196
	ds_write_b128 v202, v[104:107]
	ds_write_b128 v202, v[108:111] offset:160
	ds_write_b128 v202, v[72:75] offset:320
	s_and_saveexec_b64 s[0:1], vcc
	s_cbranch_execz .LBB0_5
; %bb.4:
	v_and_b32_e32 v72, 0xff, v197
	v_lshl_add_u32 v72, v72, 4, v196
	ds_write_b128 v72, v[136:139] offset:3840
	ds_write_b128 v72, v[116:119] offset:4000
	;; [unrolled: 1-line block ×3, first 2 shown]
.LBB0_5:
	s_or_b64 exec, exec, s[0:1]
	s_waitcnt lgkmcnt(0)
	s_barrier
	ds_read_b128 v[120:123], v187
	ds_read_b128 v[112:115], v187 offset:432
	ds_read_b128 v[144:147], v187 offset:2880
	;; [unrolled: 1-line block ×8, first 2 shown]
	s_and_saveexec_b64 s[0:1], vcc
	s_cbranch_execz .LBB0_7
; %bb.6:
	ds_read_b128 v[136:139], v187 offset:1296
	ds_read_b128 v[116:119], v187 offset:2736
	;; [unrolled: 1-line block ×3, first 2 shown]
.LBB0_7:
	s_or_b64 exec, exec, s[0:1]
	v_lshl_add_u64 v[80:81], v[184:185], 0, -3
	v_cmp_gt_u16_e64 s[0:1], 3, v184
	v_lshlrev_b32_e32 v194, 5, v184
	global_load_dwordx4 v[76:79], v194, s[10:11] offset:320
	global_load_dwordx4 v[72:75], v194, s[10:11] offset:336
	v_cndmask_b32_e64 v153, v81, v191, s[0:1]
	v_cndmask_b32_e64 v152, v80, v190, s[0:1]
	s_movk_i32 s0, 0x89
	v_mul_lo_u16_sdwa v89, v188, s0 dst_sel:DWORD dst_unused:UNUSED_PAD src0_sel:BYTE_0 src1_sel:DWORD
	v_lshrrev_b16_e32 v174, 12, v89
	v_mul_lo_u16_sdwa v104, v192, s0 dst_sel:DWORD dst_unused:UNUSED_PAD src0_sel:BYTE_0 src1_sel:DWORD
	v_lshlrev_b64 v[80:81], 5, v[152:153]
	v_mul_lo_u16_e32 v89, 30, v174
	v_lshrrev_b16_e32 v104, 12, v104
	v_lshl_add_u64 v[80:81], s[10:11], 0, v[80:81]
	v_mov_b32_e32 v88, 5
	v_sub_u16_e32 v175, v188, v89
	v_mul_lo_u16_e32 v104, 30, v104
	global_load_dwordx4 v[84:87], v[80:81], off offset:320
	s_nop 0
	global_load_dwordx4 v[80:83], v[80:81], off offset:336
	v_lshlrev_b32_sdwa v88, v88, v175 dst_sel:DWORD dst_unused:UNUSED_PAD src0_sel:DWORD src1_sel:BYTE_0
	v_sub_u16_e32 v199, v192, v104
	global_load_dwordx4 v[92:95], v88, s[10:11] offset:320
	s_nop 0
	global_load_dwordx4 v[88:91], v88, s[10:11] offset:336
	v_and_b32_e32 v153, 0xff, v199
	v_lshlrev_b32_e32 v104, 5, v153
	global_load_dwordx4 v[108:111], v104, s[10:11] offset:320
	s_nop 0
	global_load_dwordx4 v[104:107], v104, s[10:11] offset:336
	s_mov_b32 s0, 0xe8584caa
	s_mov_b32 s1, 0x3febb67a
	;; [unrolled: 1-line block ×3, first 2 shown]
	s_waitcnt lgkmcnt(0)
	s_barrier
	v_mov_b32_e32 v195, 0
	s_waitcnt vmcnt(7)
	v_mul_f64 v[154:155], v[150:151], v[78:79]
	s_waitcnt vmcnt(6)
	v_mul_f64 v[158:159], v[146:147], v[74:75]
	v_mul_f64 v[156:157], v[148:149], v[78:79]
	;; [unrolled: 1-line block ×3, first 2 shown]
	v_fma_f64 v[148:149], v[148:149], v[76:77], -v[154:155]
	v_fma_f64 v[144:145], v[144:145], v[72:73], -v[158:159]
	v_fmac_f64_e32 v[156:157], v[150:151], v[76:77]
	v_fmac_f64_e32 v[160:161], v[146:147], v[72:73]
	v_add_f64 v[150:151], v[148:149], v[144:145]
	v_add_f64 v[146:147], v[120:121], v[148:149]
	v_add_f64 v[154:155], v[156:157], -v[160:161]
	v_add_f64 v[158:159], v[122:123], v[156:157]
	v_add_f64 v[156:157], v[156:157], v[160:161]
	v_fmac_f64_e32 v[120:121], -0.5, v[150:151]
	s_waitcnt vmcnt(5)
	v_mul_f64 v[164:165], v[142:143], v[86:87]
	v_mul_f64 v[166:167], v[140:141], v[86:87]
	s_waitcnt vmcnt(4)
	v_mul_f64 v[168:169], v[134:135], v[82:83]
	v_mul_f64 v[170:171], v[132:133], v[82:83]
	v_add_f64 v[162:163], v[148:149], -v[144:145]
	v_add_f64 v[148:149], v[146:147], v[144:145]
	v_fmac_f64_e32 v[122:123], -0.5, v[156:157]
	v_fma_f64 v[140:141], v[140:141], v[84:85], -v[164:165]
	v_fmac_f64_e32 v[166:167], v[142:143], v[84:85]
	v_fma_f64 v[142:143], v[132:133], v[80:81], -v[168:169]
	v_fmac_f64_e32 v[170:171], v[134:135], v[80:81]
	v_fma_f64 v[132:133], s[0:1], v[154:155], v[120:121]
	v_fmac_f64_e32 v[120:121], s[12:13], v[154:155]
	s_waitcnt vmcnt(3)
	v_mul_f64 v[144:145], v[130:131], v[94:95]
	v_mul_f64 v[146:147], v[128:129], v[94:95]
	s_waitcnt vmcnt(2)
	v_mul_f64 v[154:155], v[126:127], v[90:91]
	v_add_f64 v[150:151], v[158:159], v[160:161]
	v_fma_f64 v[134:135], s[12:13], v[162:163], v[122:123]
	v_fmac_f64_e32 v[122:123], s[0:1], v[162:163]
	v_mul_f64 v[156:157], v[124:125], v[90:91]
	v_add_f64 v[158:159], v[112:113], v[140:141]
	v_add_f64 v[162:163], v[166:167], -v[170:171]
	v_add_f64 v[164:165], v[114:115], v[166:167]
	v_add_f64 v[166:167], v[166:167], v[170:171]
	v_fma_f64 v[144:145], v[128:129], v[92:93], -v[144:145]
	v_fmac_f64_e32 v[146:147], v[130:131], v[92:93]
	v_fma_f64 v[130:131], v[124:125], v[88:89], -v[154:155]
	s_waitcnt vmcnt(1)
	v_mul_f64 v[128:129], v[118:119], v[110:111]
	v_mul_f64 v[154:155], v[116:117], v[110:111]
	v_fmac_f64_e32 v[156:157], v[126:127], v[88:89]
	s_waitcnt vmcnt(0)
	v_mul_f64 v[172:173], v[96:97], v[106:107]
	v_add_f64 v[124:125], v[158:159], v[142:143]
	v_fma_f64 v[158:159], v[116:117], v[108:109], -v[128:129]
	v_fmac_f64_e32 v[154:155], v[118:119], v[108:109]
	v_fmac_f64_e32 v[114:115], -0.5, v[166:167]
	v_add_f64 v[116:117], v[140:141], -v[142:143]
	v_add_f64 v[118:119], v[144:145], v[130:131]
	v_add_f64 v[160:161], v[140:141], v[142:143]
	v_mul_f64 v[168:169], v[98:99], v[106:107]
	v_fmac_f64_e32 v[172:173], v[98:99], v[104:105]
	v_fma_f64 v[98:99], s[12:13], v[116:117], v[114:115]
	v_fmac_f64_e32 v[114:115], s[0:1], v[116:117]
	v_add_f64 v[116:117], v[100:101], v[144:145]
	v_fmac_f64_e32 v[100:101], -0.5, v[118:119]
	v_add_f64 v[118:119], v[146:147], -v[156:157]
	v_add_f64 v[140:141], v[146:147], v[156:157]
	v_fma_f64 v[128:129], s[0:1], v[118:119], v[100:101]
	v_fmac_f64_e32 v[100:101], s[12:13], v[118:119]
	v_add_f64 v[118:119], v[102:103], v[146:147]
	v_fmac_f64_e32 v[102:103], -0.5, v[140:141]
	v_add_f64 v[140:141], v[144:145], -v[130:131]
	v_fmac_f64_e32 v[112:113], -0.5, v[160:161]
	v_fma_f64 v[160:161], v[96:97], v[104:105], -v[168:169]
	v_add_f64 v[116:117], v[116:117], v[130:131]
	v_fma_f64 v[130:131], s[12:13], v[140:141], v[102:103]
	v_fmac_f64_e32 v[102:103], s[0:1], v[140:141]
	v_add_f64 v[140:141], v[136:137], v[158:159]
	v_add_f64 v[144:145], v[140:141], v[160:161]
	v_add_f64 v[140:141], v[158:159], v[160:161]
	v_fmac_f64_e32 v[136:137], -0.5, v[140:141]
	v_add_f64 v[142:143], v[154:155], -v[172:173]
	v_fma_f64 v[140:141], s[0:1], v[142:143], v[136:137]
	v_fmac_f64_e32 v[136:137], s[12:13], v[142:143]
	v_add_f64 v[142:143], v[138:139], v[154:155]
	v_add_f64 v[146:147], v[142:143], v[172:173]
	;; [unrolled: 1-line block ×3, first 2 shown]
	v_fmac_f64_e32 v[138:139], -0.5, v[142:143]
	v_add_f64 v[154:155], v[158:159], -v[160:161]
	v_fma_f64 v[96:97], s[0:1], v[162:163], v[112:113]
	v_fma_f64 v[142:143], s[12:13], v[154:155], v[138:139]
	v_fmac_f64_e32 v[138:139], s[0:1], v[154:155]
	ds_write_b128 v187, v[148:151]
	ds_write_b128 v187, v[132:135] offset:480
	ds_write_b128 v187, v[120:123] offset:960
	v_mov_b32_e32 v120, 0x5a
	v_cmp_lt_u16_e64 s[0:1], 2, v184
	v_add_f64 v[126:127], v[164:165], v[170:171]
	v_fmac_f64_e32 v[112:113], s[12:13], v[162:163]
	v_cndmask_b32_e64 v120, 0, v120, s[0:1]
	v_add_u32_e32 v120, v152, v120
	v_lshl_add_u32 v203, v120, 4, v196
	ds_write_b128 v203, v[124:127]
	ds_write_b128 v203, v[96:99] offset:480
	ds_write_b128 v203, v[112:115] offset:960
	v_mul_u32_u24_e32 v96, 0x5a, v174
	v_add_u32_sdwa v96, v96, v175 dst_sel:DWORD dst_unused:UNUSED_PAD src0_sel:DWORD src1_sel:BYTE_0
	v_add_f64 v[118:119], v[118:119], v[156:157]
	v_lshl_add_u32 v204, v96, 4, v196
	ds_write_b128 v204, v[116:119]
	ds_write_b128 v204, v[128:131] offset:480
	ds_write_b128 v204, v[100:103] offset:960
	s_and_saveexec_b64 s[0:1], vcc
	s_cbranch_execz .LBB0_9
; %bb.8:
	v_lshl_add_u32 v96, v153, 4, v196
	ds_write_b128 v96, v[144:147] offset:2880
	ds_write_b128 v96, v[140:143] offset:3360
	;; [unrolled: 1-line block ×3, first 2 shown]
.LBB0_9:
	s_or_b64 exec, exec, s[0:1]
	s_waitcnt lgkmcnt(0)
	s_barrier
	ds_read_b128 v[156:159], v187
	ds_read_b128 v[152:155], v187 offset:432
	ds_read_b128 v[176:179], v187 offset:2880
	;; [unrolled: 1-line block ×8, first 2 shown]
	v_lshl_add_u64 v[96:97], s[10:11], 0, v[194:195]
	s_and_saveexec_b64 s[0:1], vcc
	s_cbranch_execz .LBB0_11
; %bb.10:
	ds_read_b128 v[144:147], v187 offset:1296
	ds_read_b128 v[140:143], v187 offset:2736
	;; [unrolled: 1-line block ×3, first 2 shown]
.LBB0_11:
	s_or_b64 exec, exec, s[0:1]
	global_load_dwordx4 v[116:119], v[96:97], off offset:1280
	global_load_dwordx4 v[112:115], v[96:97], off offset:1296
	v_lshlrev_b64 v[96:97], 5, v[190:191]
	v_lshl_add_u64 v[96:97], s[10:11], 0, v[96:97]
	global_load_dwordx4 v[124:127], v[96:97], off offset:1280
	global_load_dwordx4 v[120:123], v[96:97], off offset:1296
	v_lshlrev_b64 v[96:97], 5, v[188:189]
	v_lshl_add_u64 v[96:97], s[10:11], 0, v[96:97]
	global_load_dwordx4 v[132:135], v[96:97], off offset:1280
	global_load_dwordx4 v[128:131], v[96:97], off offset:1296
	v_lshl_add_u64 v[96:97], v[184:185], 0, -9
	v_cndmask_b32_e32 v97, v97, v193, vcc
	v_cndmask_b32_e32 v96, v96, v192, vcc
	v_lshlrev_b64 v[96:97], 5, v[96:97]
	v_lshl_add_u64 v[96:97], s[10:11], 0, v[96:97]
	global_load_dwordx4 v[100:103], v[96:97], off offset:1280
	s_nop 0
	global_load_dwordx4 v[96:99], v[96:97], off offset:1296
	s_mov_b32 s0, 0xe8584caa
	s_mov_b32 s1, 0x3febb67a
	;; [unrolled: 1-line block ×4, first 2 shown]
	v_lshl_add_u32 v185, v184, 4, v196
	s_waitcnt vmcnt(7) lgkmcnt(4)
	v_mul_f64 v[190:191], v[180:181], v[118:119]
	s_waitcnt vmcnt(6)
	v_mul_f64 v[192:193], v[178:179], v[114:115]
	v_mul_f64 v[194:195], v[176:177], v[114:115]
	;; [unrolled: 1-line block ×3, first 2 shown]
	v_fmac_f64_e32 v[190:191], v[182:183], v[116:117]
	v_fma_f64 v[176:177], v[176:177], v[112:113], -v[192:193]
	v_fmac_f64_e32 v[194:195], v[178:179], v[112:113]
	s_waitcnt vmcnt(5) lgkmcnt(2)
	v_mul_f64 v[182:183], v[172:173], v[126:127]
	s_waitcnt vmcnt(4)
	v_mul_f64 v[192:193], v[160:161], v[122:123]
	s_waitcnt vmcnt(3) lgkmcnt(1)
	v_mul_f64 v[208:209], v[168:169], v[134:135]
	s_waitcnt vmcnt(2) lgkmcnt(0)
	v_mul_f64 v[212:213], v[164:165], v[130:131]
	v_mul_f64 v[210:211], v[166:167], v[130:131]
	v_add_f64 v[218:219], v[190:191], -v[194:195]
	v_add_f64 v[220:221], v[158:159], v[190:191]
	v_add_f64 v[190:191], v[190:191], v[194:195]
	v_fmac_f64_e32 v[182:183], v[174:175], v[124:125]
	v_fmac_f64_e32 v[192:193], v[162:163], v[120:121]
	;; [unrolled: 1-line block ×4, first 2 shown]
	s_waitcnt vmcnt(0)
	v_mul_f64 v[166:167], v[138:139], v[98:99]
	v_fma_f64 v[180:181], v[180:181], v[116:117], -v[188:189]
	v_mul_f64 v[188:189], v[162:163], v[122:123]
	v_mul_f64 v[206:207], v[170:171], v[134:135]
	v_add_f64 v[170:171], v[220:221], v[194:195]
	v_fmac_f64_e32 v[158:159], -0.5, v[190:191]
	v_mul_f64 v[162:163], v[136:137], v[98:99]
	v_add_f64 v[190:191], v[182:183], -v[192:193]
	v_add_f64 v[194:195], v[154:155], v[182:183]
	v_add_f64 v[182:183], v[182:183], v[192:193]
	v_fma_f64 v[166:167], v[136:137], v[96:97], -v[166:167]
	v_add_f64 v[136:137], v[150:151], v[208:209]
	v_mul_f64 v[178:179], v[174:175], v[126:127]
	v_fma_f64 v[206:207], v[168:169], v[132:133], -v[206:207]
	v_fma_f64 v[210:211], v[164:165], v[128:129], -v[210:211]
	v_mul_f64 v[164:165], v[142:143], v[102:103]
	v_fmac_f64_e32 v[154:155], -0.5, v[182:183]
	v_add_f64 v[182:183], v[136:137], v[212:213]
	v_add_f64 v[136:137], v[208:209], v[212:213]
	v_add_f64 v[214:215], v[156:157], v[180:181]
	v_add_f64 v[216:217], v[180:181], v[176:177]
	v_add_f64 v[180:181], v[180:181], -v[176:177]
	v_fma_f64 v[178:179], v[172:173], v[124:125], -v[178:179]
	v_fma_f64 v[188:189], v[160:161], v[120:121], -v[188:189]
	v_mul_f64 v[160:161], v[140:141], v[102:103]
	v_fma_f64 v[164:165], v[140:141], v[100:101], -v[164:165]
	v_fmac_f64_e32 v[150:151], -0.5, v[136:137]
	v_add_f64 v[136:137], v[206:207], -v[210:211]
	v_add_f64 v[168:169], v[214:215], v[176:177]
	v_fma_f64 v[174:175], s[10:11], v[180:181], v[158:159]
	v_fmac_f64_e32 v[158:159], s[0:1], v[180:181]
	v_add_f64 v[176:177], v[152:153], v[178:179]
	v_add_f64 v[180:181], v[178:179], v[188:189]
	v_add_f64 v[214:215], v[178:179], -v[188:189]
	v_fmac_f64_e32 v[160:161], v[142:143], v[100:101]
	v_fmac_f64_e32 v[162:163], v[138:139], v[96:97]
	v_add_f64 v[178:179], v[194:195], v[192:193]
	v_fma_f64 v[194:195], s[10:11], v[136:137], v[150:151]
	v_fmac_f64_e32 v[150:151], s[0:1], v[136:137]
	v_add_f64 v[136:137], v[164:165], v[166:167]
	v_fma_f64 v[140:141], -0.5, v[136:137], v[144:145]
	v_add_f64 v[138:139], v[160:161], -v[162:163]
	v_fmac_f64_e32 v[156:157], -0.5, v[216:217]
	v_fma_f64 v[136:137], s[0:1], v[138:139], v[140:141]
	v_fmac_f64_e32 v[140:141], s[10:11], v[138:139]
	v_add_f64 v[138:139], v[160:161], v[162:163]
	v_fma_f64 v[172:173], s[0:1], v[218:219], v[156:157]
	v_fmac_f64_e32 v[156:157], s[10:11], v[218:219]
	v_add_f64 v[216:217], v[148:149], v[206:207]
	v_add_f64 v[218:219], v[206:207], v[210:211]
	v_fma_f64 v[142:143], -0.5, v[138:139], v[146:147]
	v_add_f64 v[206:207], v[164:165], -v[166:167]
	v_add_f64 v[220:221], v[208:209], -v[212:213]
	v_fmac_f64_e32 v[152:153], -0.5, v[180:181]
	v_fmac_f64_e32 v[148:149], -0.5, v[218:219]
	v_fma_f64 v[138:139], s[10:11], v[206:207], v[142:143]
	v_fmac_f64_e32 v[142:143], s[0:1], v[206:207]
	v_add_f64 v[176:177], v[176:177], v[188:189]
	v_add_f64 v[180:181], v[216:217], v[210:211]
	v_fma_f64 v[188:189], s[0:1], v[190:191], v[152:153]
	v_fmac_f64_e32 v[152:153], s[10:11], v[190:191]
	v_fma_f64 v[190:191], s[10:11], v[214:215], v[154:155]
	v_fmac_f64_e32 v[154:155], s[0:1], v[214:215]
	;; [unrolled: 2-line block ×3, first 2 shown]
	ds_write_b128 v187, v[168:171]
	ds_write_b128 v185, v[172:175] offset:1440
	ds_write_b128 v185, v[156:159] offset:2880
	;; [unrolled: 1-line block ×8, first 2 shown]
	s_and_saveexec_b64 s[0:1], vcc
	s_cbranch_execz .LBB0_13
; %bb.12:
	v_add_f64 v[146:147], v[146:147], v[160:161]
	v_add_f64 v[144:145], v[144:145], v[164:165]
	;; [unrolled: 1-line block ×4, first 2 shown]
	ds_write_b128 v187, v[144:147] offset:1296
	ds_write_b128 v185, v[136:139] offset:2736
	;; [unrolled: 1-line block ×3, first 2 shown]
.LBB0_13:
	s_or_b64 exec, exec, s[0:1]
	v_lshlrev_b32_e32 v144, 4, v184
	v_mov_b32_e32 v145, 0
	v_lshl_add_u64 v[150:151], s[8:9], 0, v[144:145]
	s_mov_b64 s[0:1], 0x10e0
	v_lshl_add_u64 v[144:145], v[150:151], 0, s[0:1]
	s_movk_i32 s0, 0x1000
	v_add_co_u32_e64 v150, s[0:1], s0, v150
	s_waitcnt lgkmcnt(0)
	s_nop 0
	v_addc_co_u32_e64 v151, s[0:1], 0, v151, s[0:1]
	s_barrier
	global_load_dwordx4 v[150:153], v[150:151], off offset:224
	ds_read_b128 v[146:149], v187
	s_mov_b32 s14, 0x134454ff
	s_mov_b32 s15, 0xbfee6f0e
	;; [unrolled: 1-line block ×12, first 2 shown]
	s_waitcnt vmcnt(0) lgkmcnt(0)
	v_mul_f64 v[154:155], v[148:149], v[152:153]
	v_mul_f64 v[156:157], v[146:147], v[152:153]
	v_fma_f64 v[154:155], v[146:147], v[150:151], -v[154:155]
	v_fmac_f64_e32 v[156:157], v[148:149], v[150:151]
	global_load_dwordx4 v[150:153], v[144:145], off offset:432
	ds_read_b128 v[146:149], v187 offset:432
	ds_write_b128 v187, v[154:157]
	s_waitcnt vmcnt(0) lgkmcnt(1)
	v_mul_f64 v[154:155], v[148:149], v[152:153]
	v_mul_f64 v[156:157], v[146:147], v[152:153]
	v_fma_f64 v[154:155], v[146:147], v[150:151], -v[154:155]
	v_fmac_f64_e32 v[156:157], v[148:149], v[150:151]
	global_load_dwordx4 v[150:153], v[144:145], off offset:864
	ds_read_b128 v[146:149], v187 offset:864
	ds_write_b128 v187, v[154:157] offset:432
	s_waitcnt vmcnt(0) lgkmcnt(1)
	v_mul_f64 v[154:155], v[148:149], v[152:153]
	v_mul_f64 v[156:157], v[146:147], v[152:153]
	v_fma_f64 v[154:155], v[146:147], v[150:151], -v[154:155]
	v_fmac_f64_e32 v[156:157], v[148:149], v[150:151]
	global_load_dwordx4 v[150:153], v[144:145], off offset:1296
	ds_read_b128 v[146:149], v185 offset:1296
	ds_write_b128 v187, v[154:157] offset:864
	;; [unrolled: 8-line block ×8, first 2 shown]
	s_waitcnt vmcnt(0) lgkmcnt(1)
	v_mul_f64 v[144:145], v[148:149], v[152:153]
	v_fma_f64 v[144:145], v[146:147], v[150:151], -v[144:145]
	v_mul_f64 v[146:147], v[146:147], v[152:153]
	v_fmac_f64_e32 v[146:147], v[148:149], v[150:151]
	ds_write_b128 v187, v[144:147] offset:3888
	s_waitcnt lgkmcnt(0)
	s_barrier
	ds_read_b128 v[144:147], v187
	ds_read_b128 v[148:151], v187 offset:432
	ds_read_b128 v[152:155], v187 offset:864
	;; [unrolled: 1-line block ×9, first 2 shown]
	s_waitcnt lgkmcnt(5)
	v_add_f64 v[208:209], v[152:153], -v[160:161]
	s_waitcnt lgkmcnt(3)
	v_add_f64 v[190:191], v[160:161], v[168:169]
	v_fma_f64 v[190:191], -0.5, v[190:191], v[144:145]
	s_waitcnt lgkmcnt(1)
	v_add_f64 v[192:193], v[154:155], -v[178:179]
	v_fma_f64 v[194:195], s[14:15], v[192:193], v[190:191]
	v_add_f64 v[206:207], v[162:163], -v[170:171]
	v_add_f64 v[210:211], v[176:177], -v[168:169]
	v_fmac_f64_e32 v[190:191], s[8:9], v[192:193]
	v_fmac_f64_e32 v[194:195], s[12:13], v[206:207]
	v_add_f64 v[208:209], v[208:209], v[210:211]
	v_fmac_f64_e32 v[190:191], s[0:1], v[206:207]
	v_fmac_f64_e32 v[194:195], s[10:11], v[208:209]
	;; [unrolled: 1-line block ×3, first 2 shown]
	v_add_f64 v[208:209], v[152:153], v[176:177]
	v_add_f64 v[188:189], v[144:145], v[152:153]
	v_fmac_f64_e32 v[144:145], -0.5, v[208:209]
	v_add_f64 v[188:189], v[188:189], v[160:161]
	v_fma_f64 v[208:209], s[8:9], v[206:207], v[144:145]
	v_add_f64 v[210:211], v[160:161], -v[152:153]
	v_add_f64 v[212:213], v[168:169], -v[176:177]
	v_fmac_f64_e32 v[144:145], s[14:15], v[206:207]
	v_add_f64 v[206:207], v[162:163], v[170:171]
	v_add_f64 v[188:189], v[188:189], v[168:169]
	v_fmac_f64_e32 v[208:209], s[12:13], v[192:193]
	v_add_f64 v[210:211], v[210:211], v[212:213]
	v_fmac_f64_e32 v[144:145], s[0:1], v[192:193]
	v_fma_f64 v[206:207], -0.5, v[206:207], v[146:147]
	v_add_f64 v[152:153], v[152:153], -v[176:177]
	v_add_f64 v[188:189], v[188:189], v[176:177]
	v_fmac_f64_e32 v[208:209], s[10:11], v[210:211]
	v_fmac_f64_e32 v[144:145], s[10:11], v[210:211]
	v_fma_f64 v[210:211], s[8:9], v[152:153], v[206:207]
	v_add_f64 v[160:161], v[160:161], -v[168:169]
	v_add_f64 v[168:169], v[154:155], -v[162:163]
	;; [unrolled: 1-line block ×3, first 2 shown]
	v_fmac_f64_e32 v[206:207], s[14:15], v[152:153]
	v_fmac_f64_e32 v[210:211], s[0:1], v[160:161]
	v_add_f64 v[168:169], v[168:169], v[176:177]
	v_fmac_f64_e32 v[206:207], s[12:13], v[160:161]
	v_fmac_f64_e32 v[210:211], s[10:11], v[168:169]
	;; [unrolled: 1-line block ×3, first 2 shown]
	v_add_f64 v[168:169], v[154:155], v[178:179]
	v_add_f64 v[192:193], v[146:147], v[154:155]
	v_fmac_f64_e32 v[146:147], -0.5, v[168:169]
	v_fma_f64 v[212:213], s[14:15], v[160:161], v[146:147]
	v_fmac_f64_e32 v[146:147], s[8:9], v[160:161]
	v_fmac_f64_e32 v[212:213], s[0:1], v[152:153]
	;; [unrolled: 1-line block ×3, first 2 shown]
	v_add_f64 v[152:153], v[148:149], v[156:157]
	v_add_f64 v[152:153], v[152:153], v[164:165]
	v_add_f64 v[152:153], v[152:153], v[172:173]
	v_add_f64 v[192:193], v[192:193], v[162:163]
	v_add_f64 v[154:155], v[162:163], -v[154:155]
	v_add_f64 v[162:163], v[170:171], -v[178:179]
	s_waitcnt lgkmcnt(0)
	v_add_f64 v[176:177], v[152:153], v[180:181]
	v_add_f64 v[152:153], v[164:165], v[172:173]
	;; [unrolled: 1-line block ×4, first 2 shown]
	v_fma_f64 v[170:171], -0.5, v[152:153], v[148:149]
	v_add_f64 v[152:153], v[158:159], -v[182:183]
	v_fmac_f64_e32 v[212:213], s[10:11], v[154:155]
	v_fmac_f64_e32 v[146:147], s[10:11], v[154:155]
	v_fma_f64 v[162:163], s[14:15], v[152:153], v[170:171]
	v_add_f64 v[154:155], v[166:167], -v[174:175]
	v_add_f64 v[160:161], v[156:157], -v[164:165]
	;; [unrolled: 1-line block ×3, first 2 shown]
	v_fmac_f64_e32 v[170:171], s[8:9], v[152:153]
	v_fmac_f64_e32 v[162:163], s[12:13], v[154:155]
	v_add_f64 v[160:161], v[160:161], v[168:169]
	v_fmac_f64_e32 v[170:171], s[0:1], v[154:155]
	v_fmac_f64_e32 v[162:163], s[10:11], v[160:161]
	;; [unrolled: 1-line block ×3, first 2 shown]
	v_add_f64 v[160:161], v[156:157], v[180:181]
	v_fmac_f64_e32 v[148:149], -0.5, v[160:161]
	v_add_f64 v[192:193], v[192:193], v[178:179]
	v_fma_f64 v[178:179], s[8:9], v[154:155], v[148:149]
	v_fmac_f64_e32 v[148:149], s[14:15], v[154:155]
	v_fmac_f64_e32 v[178:179], s[12:13], v[152:153]
	;; [unrolled: 1-line block ×3, first 2 shown]
	v_add_f64 v[152:153], v[150:151], v[158:159]
	v_add_f64 v[152:153], v[152:153], v[166:167]
	;; [unrolled: 1-line block ×3, first 2 shown]
	v_add_f64 v[160:161], v[164:165], -v[156:157]
	v_add_f64 v[168:169], v[172:173], -v[180:181]
	v_add_f64 v[214:215], v[152:153], v[182:183]
	v_add_f64 v[152:153], v[166:167], v[174:175]
	;; [unrolled: 1-line block ×3, first 2 shown]
	v_fma_f64 v[216:217], -0.5, v[152:153], v[150:151]
	v_add_f64 v[152:153], v[156:157], -v[180:181]
	v_fmac_f64_e32 v[178:179], s[10:11], v[160:161]
	v_fmac_f64_e32 v[148:149], s[10:11], v[160:161]
	v_fma_f64 v[180:181], s[8:9], v[152:153], v[216:217]
	v_add_f64 v[154:155], v[164:165], -v[172:173]
	v_add_f64 v[156:157], v[158:159], -v[166:167]
	;; [unrolled: 1-line block ×3, first 2 shown]
	v_fmac_f64_e32 v[216:217], s[14:15], v[152:153]
	v_fmac_f64_e32 v[180:181], s[0:1], v[154:155]
	v_add_f64 v[156:157], v[156:157], v[160:161]
	v_fmac_f64_e32 v[216:217], s[12:13], v[154:155]
	v_fmac_f64_e32 v[180:181], s[10:11], v[156:157]
	;; [unrolled: 1-line block ×3, first 2 shown]
	v_add_f64 v[156:157], v[158:159], v[182:183]
	v_fmac_f64_e32 v[150:151], -0.5, v[156:157]
	v_fma_f64 v[172:173], s[14:15], v[154:155], v[150:151]
	v_add_f64 v[156:157], v[166:167], -v[158:159]
	v_add_f64 v[158:159], v[174:175], -v[182:183]
	v_fmac_f64_e32 v[150:151], s[8:9], v[154:155]
	v_fmac_f64_e32 v[172:173], s[0:1], v[152:153]
	v_add_f64 v[156:157], v[156:157], v[158:159]
	v_fmac_f64_e32 v[150:151], s[12:13], v[152:153]
	v_fmac_f64_e32 v[172:173], s[10:11], v[156:157]
	;; [unrolled: 1-line block ×3, first 2 shown]
	v_mul_f64 v[174:175], v[180:181], s[12:13]
	v_mul_f64 v[182:183], v[172:173], s[14:15]
	;; [unrolled: 1-line block ×3, first 2 shown]
	s_mov_b32 s15, 0xbfd3c6ef
	s_mov_b32 s14, s10
	v_mul_f64 v[220:221], v[216:217], s[12:13]
	s_mov_b32 s13, 0xbfe9e377
	s_mov_b32 s12, s16
	v_mul_f64 v[222:223], v[162:163], s[0:1]
	v_mul_f64 v[224:225], v[172:173], s[10:11]
	;; [unrolled: 1-line block ×4, first 2 shown]
	v_fmac_f64_e32 v[174:175], s[16:17], v[162:163]
	v_fmac_f64_e32 v[182:183], s[10:11], v[178:179]
	;; [unrolled: 1-line block ×8, first 2 shown]
	v_add_f64 v[152:153], v[188:189], v[176:177]
	v_add_f64 v[156:157], v[194:195], v[174:175]
	;; [unrolled: 1-line block ×10, first 2 shown]
	v_add_f64 v[148:149], v[188:189], -v[176:177]
	v_add_f64 v[172:173], v[194:195], -v[174:175]
	;; [unrolled: 1-line block ×10, first 2 shown]
	s_barrier
	ds_write_b128 v198, v[152:155]
	ds_write_b128 v198, v[156:159] offset:16
	ds_write_b128 v198, v[160:163] offset:32
	;; [unrolled: 1-line block ×9, first 2 shown]
	s_waitcnt lgkmcnt(0)
	s_barrier
	ds_read_b128 v[156:159], v187
	ds_read_b128 v[180:183], v187 offset:1440
	ds_read_b128 v[164:167], v187 offset:2880
	;; [unrolled: 1-line block ×8, first 2 shown]
	s_and_saveexec_b64 s[0:1], vcc
	s_cbranch_execz .LBB0_15
; %bb.14:
	ds_read_b128 v[144:147], v185 offset:1296
	ds_read_b128 v[136:139], v187 offset:2736
	;; [unrolled: 1-line block ×3, first 2 shown]
.LBB0_15:
	s_or_b64 exec, exec, s[0:1]
	s_waitcnt lgkmcnt(7)
	v_mul_f64 v[188:189], v[62:63], v[182:183]
	v_mul_f64 v[62:63], v[62:63], v[180:181]
	v_fmac_f64_e32 v[188:189], v[60:61], v[180:181]
	v_fma_f64 v[60:61], v[60:61], v[182:183], -v[62:63]
	s_waitcnt lgkmcnt(6)
	v_mul_f64 v[62:63], v[58:59], v[166:167]
	v_fmac_f64_e32 v[62:63], v[56:57], v[164:165]
	v_mul_f64 v[58:59], v[58:59], v[164:165]
	s_waitcnt lgkmcnt(4)
	v_mul_f64 v[164:165], v[46:47], v[170:171]
	v_fmac_f64_e32 v[164:165], v[44:45], v[168:169]
	v_mul_f64 v[46:47], v[46:47], v[168:169]
	s_waitcnt lgkmcnt(0)
	v_mul_f64 v[168:169], v[50:51], v[162:163]
	v_mul_f64 v[50:51], v[50:51], v[160:161]
	v_fmac_f64_e32 v[168:169], v[48:49], v[160:161]
	v_fma_f64 v[160:161], v[48:49], v[162:163], -v[50:51]
	v_mul_f64 v[162:163], v[70:71], v[138:139]
	v_mul_f64 v[48:49], v[70:71], v[136:137]
	v_fma_f64 v[56:57], v[56:57], v[166:167], -v[58:59]
	v_fma_f64 v[44:45], v[44:45], v[170:171], -v[46:47]
	v_mul_f64 v[46:47], v[42:43], v[174:175]
	v_mul_f64 v[42:43], v[42:43], v[172:173]
	v_fmac_f64_e32 v[162:163], v[68:69], v[136:137]
	v_fma_f64 v[136:137], v[68:69], v[138:139], -v[48:49]
	v_mul_f64 v[138:139], v[66:67], v[142:143]
	v_mul_f64 v[48:49], v[66:67], v[140:141]
	v_add_f64 v[50:51], v[188:189], v[62:63]
	s_mov_b32 s0, 0xe8584caa
	v_fmac_f64_e32 v[46:47], v[40:41], v[172:173]
	v_fma_f64 v[40:41], v[40:41], v[174:175], -v[42:43]
	v_mul_f64 v[42:43], v[54:55], v[178:179]
	v_mul_f64 v[54:55], v[54:55], v[176:177]
	v_fmac_f64_e32 v[138:139], v[64:65], v[140:141]
	v_fma_f64 v[140:141], v[64:65], v[142:143], -v[48:49]
	v_add_f64 v[48:49], v[156:157], v[188:189]
	v_fmac_f64_e32 v[156:157], -0.5, v[50:51]
	v_add_f64 v[50:51], v[60:61], -v[56:57]
	s_mov_b32 s1, 0xbfebb67a
	s_mov_b32 s9, 0x3febb67a
	;; [unrolled: 1-line block ×3, first 2 shown]
	v_fmac_f64_e32 v[42:43], v[52:53], v[176:177]
	v_fma_f64 v[166:167], v[52:53], v[178:179], -v[54:55]
	v_fma_f64 v[52:53], s[0:1], v[50:51], v[156:157]
	v_fmac_f64_e32 v[156:157], s[8:9], v[50:51]
	v_add_f64 v[50:51], v[158:159], v[60:61]
	v_add_f64 v[54:55], v[60:61], v[56:57]
	;; [unrolled: 1-line block ×3, first 2 shown]
	v_fmac_f64_e32 v[158:159], -0.5, v[54:55]
	v_add_f64 v[56:57], v[188:189], -v[62:63]
	v_add_f64 v[58:59], v[164:165], v[46:47]
	v_fma_f64 v[54:55], s[8:9], v[56:57], v[158:159]
	v_fmac_f64_e32 v[158:159], s[0:1], v[56:57]
	v_add_f64 v[56:57], v[152:153], v[164:165]
	v_fmac_f64_e32 v[152:153], -0.5, v[58:59]
	v_add_f64 v[58:59], v[44:45], -v[40:41]
	v_fma_f64 v[60:61], s[0:1], v[58:59], v[152:153]
	v_fmac_f64_e32 v[152:153], s[8:9], v[58:59]
	v_add_f64 v[58:59], v[154:155], v[44:45]
	v_add_f64 v[58:59], v[58:59], v[40:41]
	;; [unrolled: 1-line block ×3, first 2 shown]
	v_fmac_f64_e32 v[154:155], -0.5, v[40:41]
	v_add_f64 v[40:41], v[164:165], -v[46:47]
	v_add_f64 v[48:49], v[48:49], v[62:63]
	v_fma_f64 v[62:63], s[8:9], v[40:41], v[154:155]
	v_fmac_f64_e32 v[154:155], s[0:1], v[40:41]
	v_add_f64 v[40:41], v[148:149], v[42:43]
	v_add_f64 v[64:65], v[40:41], v[168:169]
	v_add_f64 v[40:41], v[42:43], v[168:169]
	v_fmac_f64_e32 v[148:149], -0.5, v[40:41]
	v_add_f64 v[40:41], v[166:167], -v[160:161]
	v_fma_f64 v[68:69], s[0:1], v[40:41], v[148:149]
	v_fmac_f64_e32 v[148:149], s[8:9], v[40:41]
	v_add_f64 v[40:41], v[150:151], v[166:167]
	v_add_f64 v[66:67], v[40:41], v[160:161]
	;; [unrolled: 1-line block ×3, first 2 shown]
	v_fmac_f64_e32 v[150:151], -0.5, v[40:41]
	v_add_f64 v[40:41], v[42:43], -v[168:169]
	v_add_f64 v[42:43], v[162:163], v[138:139]
	v_add_f64 v[56:57], v[56:57], v[46:47]
	v_fma_f64 v[70:71], s[8:9], v[40:41], v[150:151]
	v_fmac_f64_e32 v[150:151], s[0:1], v[40:41]
	v_add_f64 v[40:41], v[144:145], v[162:163]
	v_fmac_f64_e32 v[144:145], -0.5, v[42:43]
	v_add_f64 v[42:43], v[136:137], -v[140:141]
	v_add_f64 v[46:47], v[136:137], v[140:141]
	v_fma_f64 v[44:45], s[0:1], v[42:43], v[144:145]
	v_fmac_f64_e32 v[144:145], s[8:9], v[42:43]
	v_add_f64 v[42:43], v[146:147], v[136:137]
	v_fmac_f64_e32 v[146:147], -0.5, v[46:47]
	v_add_f64 v[136:137], v[162:163], -v[138:139]
	v_add_f64 v[40:41], v[40:41], v[138:139]
	v_add_f64 v[42:43], v[42:43], v[140:141]
	v_fma_f64 v[46:47], s[8:9], v[136:137], v[146:147]
	v_fmac_f64_e32 v[146:147], s[0:1], v[136:137]
	s_barrier
	ds_write_b128 v200, v[48:51]
	ds_write_b128 v200, v[52:55] offset:160
	ds_write_b128 v200, v[156:159] offset:320
	ds_write_b128 v201, v[56:59]
	ds_write_b128 v201, v[60:63] offset:160
	ds_write_b128 v201, v[152:155] offset:320
	;; [unrolled: 3-line block ×3, first 2 shown]
	s_and_saveexec_b64 s[0:1], vcc
	s_cbranch_execz .LBB0_17
; %bb.16:
	v_and_b32_e32 v48, 0xff, v197
	v_lshl_add_u32 v48, v48, 4, v196
	ds_write_b128 v48, v[40:43] offset:3840
	ds_write_b128 v48, v[44:47] offset:4000
	;; [unrolled: 1-line block ×3, first 2 shown]
.LBB0_17:
	s_or_b64 exec, exec, s[0:1]
	s_waitcnt lgkmcnt(0)
	s_barrier
	ds_read_b128 v[60:63], v187
	ds_read_b128 v[56:59], v187 offset:432
	ds_read_b128 v[136:139], v187 offset:2880
	;; [unrolled: 1-line block ×8, first 2 shown]
	s_and_saveexec_b64 s[0:1], vcc
	s_cbranch_execz .LBB0_19
; %bb.18:
	ds_read_b128 v[40:43], v185 offset:1296
	ds_read_b128 v[44:47], v187 offset:2736
	;; [unrolled: 1-line block ×3, first 2 shown]
.LBB0_19:
	s_or_b64 exec, exec, s[0:1]
	s_waitcnt lgkmcnt(4)
	v_mul_f64 v[152:153], v[78:79], v[150:151]
	v_mul_f64 v[78:79], v[78:79], v[148:149]
	v_fmac_f64_e32 v[152:153], v[76:77], v[148:149]
	v_fma_f64 v[76:77], v[76:77], v[150:151], -v[78:79]
	v_mul_f64 v[78:79], v[74:75], v[138:139]
	v_mul_f64 v[74:75], v[74:75], v[136:137]
	v_fmac_f64_e32 v[78:79], v[72:73], v[136:137]
	v_fma_f64 v[72:73], v[72:73], v[138:139], -v[74:75]
	s_waitcnt lgkmcnt(1)
	v_mul_f64 v[138:139], v[94:95], v[66:67]
	v_fmac_f64_e32 v[138:139], v[92:93], v[64:65]
	v_mul_f64 v[64:65], v[94:95], v[64:65]
	s_waitcnt lgkmcnt(0)
	v_mul_f64 v[94:95], v[90:91], v[50:51]
	v_fmac_f64_e32 v[94:95], v[88:89], v[48:49]
	v_mul_f64 v[48:49], v[90:91], v[48:49]
	v_fma_f64 v[48:49], v[88:89], v[50:51], -v[48:49]
	v_mul_f64 v[50:51], v[110:111], v[46:47]
	v_fmac_f64_e32 v[50:51], v[108:109], v[44:45]
	v_mul_f64 v[44:45], v[110:111], v[44:45]
	v_fma_f64 v[88:89], v[108:109], v[46:47], -v[44:45]
	v_mul_f64 v[90:91], v[106:107], v[146:147]
	v_mul_f64 v[44:45], v[106:107], v[144:145]
	v_fmac_f64_e32 v[90:91], v[104:105], v[144:145]
	v_fma_f64 v[104:105], v[104:105], v[146:147], -v[44:45]
	v_add_f64 v[44:45], v[60:61], v[152:153]
	v_mul_f64 v[136:137], v[86:87], v[142:143]
	v_mul_f64 v[74:75], v[86:87], v[140:141]
	;; [unrolled: 1-line block ×3, first 2 shown]
	v_fma_f64 v[92:93], v[92:93], v[66:67], -v[64:65]
	v_add_f64 v[64:65], v[44:45], v[78:79]
	v_add_f64 v[44:45], v[152:153], v[78:79]
	s_mov_b32 s0, 0xe8584caa
	v_fmac_f64_e32 v[86:87], v[80:81], v[68:69]
	v_mul_f64 v[68:69], v[82:83], v[68:69]
	v_fmac_f64_e32 v[60:61], -0.5, v[44:45]
	v_add_f64 v[44:45], v[76:77], -v[72:73]
	s_mov_b32 s1, 0xbfebb67a
	s_mov_b32 s8, s0
	v_fma_f64 v[80:81], v[80:81], v[70:71], -v[68:69]
	v_fma_f64 v[68:69], s[0:1], v[44:45], v[60:61]
	v_fmac_f64_e32 v[60:61], s[8:9], v[44:45]
	v_add_f64 v[44:45], v[62:63], v[76:77]
	v_add_f64 v[66:67], v[44:45], v[72:73]
	;; [unrolled: 1-line block ×3, first 2 shown]
	v_fmac_f64_e32 v[136:137], v[84:85], v[140:141]
	v_fmac_f64_e32 v[62:63], -0.5, v[44:45]
	v_add_f64 v[44:45], v[152:153], -v[78:79]
	v_fma_f64 v[70:71], s[8:9], v[44:45], v[62:63]
	v_fmac_f64_e32 v[62:63], s[0:1], v[44:45]
	v_add_f64 v[44:45], v[56:57], v[136:137]
	v_fma_f64 v[84:85], v[84:85], v[142:143], -v[74:75]
	v_add_f64 v[72:73], v[44:45], v[86:87]
	v_add_f64 v[44:45], v[136:137], v[86:87]
	v_fmac_f64_e32 v[56:57], -0.5, v[44:45]
	v_add_f64 v[44:45], v[84:85], -v[80:81]
	v_fma_f64 v[76:77], s[0:1], v[44:45], v[56:57]
	v_fmac_f64_e32 v[56:57], s[8:9], v[44:45]
	v_add_f64 v[44:45], v[58:59], v[84:85]
	v_add_f64 v[74:75], v[44:45], v[80:81]
	v_add_f64 v[44:45], v[84:85], v[80:81]
	v_fmac_f64_e32 v[58:59], -0.5, v[44:45]
	v_add_f64 v[44:45], v[136:137], -v[86:87]
	v_fma_f64 v[78:79], s[8:9], v[44:45], v[58:59]
	v_fmac_f64_e32 v[58:59], s[0:1], v[44:45]
	v_add_f64 v[44:45], v[52:53], v[138:139]
	;; [unrolled: 7-line block ×3, first 2 shown]
	v_add_f64 v[82:83], v[44:45], v[48:49]
	v_add_f64 v[44:45], v[92:93], v[48:49]
	v_fmac_f64_e32 v[54:55], -0.5, v[44:45]
	v_add_f64 v[44:45], v[138:139], -v[94:95]
	v_add_f64 v[46:47], v[50:51], v[90:91]
	v_fma_f64 v[86:87], s[8:9], v[44:45], v[54:55]
	v_fmac_f64_e32 v[54:55], s[0:1], v[44:45]
	v_add_f64 v[44:45], v[40:41], v[50:51]
	v_fmac_f64_e32 v[40:41], -0.5, v[46:47]
	v_add_f64 v[46:47], v[88:89], -v[104:105]
	v_fma_f64 v[48:49], s[0:1], v[46:47], v[40:41]
	v_fmac_f64_e32 v[40:41], s[8:9], v[46:47]
	v_add_f64 v[46:47], v[42:43], v[88:89]
	v_add_f64 v[88:89], v[88:89], v[104:105]
	v_fmac_f64_e32 v[42:43], -0.5, v[88:89]
	v_add_f64 v[88:89], v[50:51], -v[90:91]
	v_add_f64 v[44:45], v[44:45], v[90:91]
	v_add_f64 v[46:47], v[46:47], v[104:105]
	v_fma_f64 v[50:51], s[8:9], v[88:89], v[42:43]
	v_fmac_f64_e32 v[42:43], s[0:1], v[88:89]
	s_barrier
	ds_write_b128 v187, v[64:67]
	ds_write_b128 v187, v[68:71] offset:480
	ds_write_b128 v187, v[60:63] offset:960
	ds_write_b128 v203, v[72:75]
	ds_write_b128 v203, v[76:79] offset:480
	ds_write_b128 v203, v[56:59] offset:960
	;; [unrolled: 3-line block ×3, first 2 shown]
	s_and_saveexec_b64 s[0:1], vcc
	s_cbranch_execz .LBB0_21
; %bb.20:
	v_and_b32_e32 v52, 0xff, v199
	v_lshl_add_u32 v52, v52, 4, v196
	ds_write_b128 v52, v[44:47] offset:2880
	ds_write_b128 v52, v[48:51] offset:3360
	;; [unrolled: 1-line block ×3, first 2 shown]
.LBB0_21:
	s_or_b64 exec, exec, s[0:1]
	s_waitcnt lgkmcnt(0)
	s_barrier
	ds_read_b128 v[60:63], v187
	ds_read_b128 v[56:59], v187 offset:432
	ds_read_b128 v[76:79], v187 offset:2880
	;; [unrolled: 1-line block ×8, first 2 shown]
	v_add_u32_e32 v88, 0x360, v187
	s_and_saveexec_b64 s[0:1], vcc
	s_cbranch_execz .LBB0_23
; %bb.22:
	ds_read_b128 v[44:47], v185 offset:1296
	ds_read_b128 v[48:51], v187 offset:2736
	;; [unrolled: 1-line block ×3, first 2 shown]
.LBB0_23:
	s_or_b64 exec, exec, s[0:1]
	s_waitcnt lgkmcnt(4)
	v_mul_f64 v[90:91], v[118:119], v[86:87]
	v_fmac_f64_e32 v[90:91], v[116:117], v[84:85]
	v_mul_f64 v[84:85], v[118:119], v[84:85]
	v_fma_f64 v[84:85], v[116:117], v[86:87], -v[84:85]
	v_mul_f64 v[86:87], v[114:115], v[78:79]
	v_fmac_f64_e32 v[86:87], v[112:113], v[76:77]
	v_mul_f64 v[76:77], v[114:115], v[76:77]
	v_fma_f64 v[76:77], v[112:113], v[78:79], -v[76:77]
	s_waitcnt lgkmcnt(2)
	v_mul_f64 v[78:79], v[126:127], v[82:83]
	s_waitcnt lgkmcnt(0)
	v_mul_f64 v[106:107], v[130:131], v[66:67]
	v_fmac_f64_e32 v[78:79], v[124:125], v[80:81]
	v_mul_f64 v[80:81], v[126:127], v[80:81]
	v_mul_f64 v[94:95], v[134:135], v[70:71]
	v_fmac_f64_e32 v[106:107], v[128:129], v[64:65]
	v_mul_f64 v[64:65], v[130:131], v[64:65]
	v_fma_f64 v[80:81], v[124:125], v[82:83], -v[80:81]
	v_mul_f64 v[82:83], v[122:123], v[74:75]
	v_fmac_f64_e32 v[94:95], v[132:133], v[68:69]
	v_mul_f64 v[68:69], v[134:135], v[68:69]
	v_fma_f64 v[108:109], v[128:129], v[66:67], -v[64:65]
	v_add_f64 v[66:67], v[90:91], v[86:87]
	s_mov_b32 s0, 0xe8584caa
	v_fmac_f64_e32 v[82:83], v[120:121], v[72:73]
	v_mul_f64 v[72:73], v[122:123], v[72:73]
	v_fma_f64 v[104:105], v[132:133], v[70:71], -v[68:69]
	v_add_f64 v[64:65], v[60:61], v[90:91]
	v_fmac_f64_e32 v[60:61], -0.5, v[66:67]
	v_add_f64 v[66:67], v[84:85], -v[76:77]
	s_mov_b32 s1, 0xbfebb67a
	s_mov_b32 s8, s0
	v_add_f64 v[70:71], v[84:85], v[76:77]
	v_fma_f64 v[92:93], v[120:121], v[74:75], -v[72:73]
	v_fma_f64 v[68:69], s[0:1], v[66:67], v[60:61]
	v_fmac_f64_e32 v[60:61], s[8:9], v[66:67]
	v_add_f64 v[66:67], v[62:63], v[84:85]
	v_fmac_f64_e32 v[62:63], -0.5, v[70:71]
	v_add_f64 v[72:73], v[90:91], -v[86:87]
	v_add_f64 v[74:75], v[78:79], v[82:83]
	v_fma_f64 v[70:71], s[8:9], v[72:73], v[62:63]
	v_fmac_f64_e32 v[62:63], s[0:1], v[72:73]
	v_add_f64 v[72:73], v[56:57], v[78:79]
	v_fmac_f64_e32 v[56:57], -0.5, v[74:75]
	v_add_f64 v[74:75], v[80:81], -v[92:93]
	v_add_f64 v[66:67], v[66:67], v[76:77]
	v_fma_f64 v[76:77], s[0:1], v[74:75], v[56:57]
	v_fmac_f64_e32 v[56:57], s[8:9], v[74:75]
	v_add_f64 v[74:75], v[58:59], v[80:81]
	v_add_f64 v[80:81], v[80:81], v[92:93]
	;; [unrolled: 1-line block ×3, first 2 shown]
	v_fmac_f64_e32 v[58:59], -0.5, v[80:81]
	v_add_f64 v[80:81], v[78:79], -v[82:83]
	v_add_f64 v[82:83], v[94:95], v[106:107]
	v_add_f64 v[64:65], v[64:65], v[86:87]
	v_fma_f64 v[78:79], s[8:9], v[80:81], v[58:59]
	v_fmac_f64_e32 v[58:59], s[0:1], v[80:81]
	v_add_f64 v[80:81], v[52:53], v[94:95]
	v_fmac_f64_e32 v[52:53], -0.5, v[82:83]
	v_add_f64 v[82:83], v[104:105], -v[108:109]
	v_add_f64 v[86:87], v[104:105], v[108:109]
	v_fma_f64 v[84:85], s[0:1], v[82:83], v[52:53]
	v_fmac_f64_e32 v[52:53], s[8:9], v[82:83]
	v_add_f64 v[82:83], v[54:55], v[104:105]
	v_fmac_f64_e32 v[54:55], -0.5, v[86:87]
	v_add_f64 v[90:91], v[94:95], -v[106:107]
	v_add_f64 v[74:75], v[74:75], v[92:93]
	v_add_f64 v[80:81], v[80:81], v[106:107]
	;; [unrolled: 1-line block ×3, first 2 shown]
	v_fma_f64 v[86:87], s[8:9], v[90:91], v[54:55]
	v_fmac_f64_e32 v[54:55], s[0:1], v[90:91]
	ds_write_b128 v187, v[64:67]
	ds_write_b128 v185, v[68:71] offset:1440
	ds_write_b128 v185, v[60:63] offset:2880
	;; [unrolled: 1-line block ×8, first 2 shown]
	s_and_saveexec_b64 s[10:11], vcc
	s_cbranch_execz .LBB0_25
; %bb.24:
	v_mul_f64 v[52:53], v[102:103], v[48:49]
	v_fma_f64 v[54:55], v[100:101], v[50:51], -v[52:53]
	v_mul_f64 v[52:53], v[98:99], v[40:41]
	v_mul_f64 v[58:59], v[102:103], v[50:51]
	v_fma_f64 v[56:57], v[96:97], v[42:43], -v[52:53]
	v_fmac_f64_e32 v[58:59], v[100:101], v[48:49]
	v_mul_f64 v[48:49], v[98:99], v[42:43]
	v_add_f64 v[52:53], v[54:55], v[56:57]
	v_fmac_f64_e32 v[48:49], v[96:97], v[40:41]
	v_fma_f64 v[52:53], -0.5, v[52:53], v[46:47]
	v_add_f64 v[40:41], v[58:59], -v[48:49]
	v_fma_f64 v[42:43], s[0:1], v[40:41], v[52:53]
	v_fmac_f64_e32 v[52:53], s[8:9], v[40:41]
	v_add_f64 v[40:41], v[46:47], v[54:55]
	v_add_f64 v[46:47], v[40:41], v[56:57]
	;; [unrolled: 1-line block ×3, first 2 shown]
	v_fma_f64 v[50:51], -0.5, v[40:41], v[44:45]
	v_add_f64 v[44:45], v[44:45], v[58:59]
	v_add_f64 v[54:55], v[54:55], -v[56:57]
	v_add_f64 v[44:45], v[44:45], v[48:49]
	v_fma_f64 v[40:41], s[8:9], v[54:55], v[50:51]
	v_fmac_f64_e32 v[50:51], s[0:1], v[54:55]
	ds_write_b128 v185, v[44:47] offset:1296
	ds_write_b128 v185, v[50:53] offset:2736
	;; [unrolled: 1-line block ×3, first 2 shown]
.LBB0_25:
	s_or_b64 exec, exec, s[10:11]
	s_waitcnt lgkmcnt(0)
	s_barrier
	ds_read_b128 v[40:43], v187
	v_mad_u64_u32 v[54:55], s[0:1], s6, v186, 0
	v_mov_b32_e32 v44, v55
	v_mad_u64_u32 v[44:45], s[0:1], s7, v186, v[44:45]
	v_mov_b32_e32 v55, v44
	ds_read_b128 v[44:47], v187 offset:432
	s_waitcnt lgkmcnt(1)
	v_mul_f64 v[48:49], v[34:35], v[42:43]
	s_mov_b32 s0, 0xc901e574
	v_mul_f64 v[34:35], v[34:35], v[40:41]
	v_fmac_f64_e32 v[48:49], v[32:33], v[40:41]
	s_mov_b32 s1, 0x3f6e573a
	v_fma_f64 v[32:33], v[32:33], v[42:43], -v[34:35]
	v_mov_b32_e32 v52, s2
	v_mov_b32_e32 v53, s3
	v_mul_f64 v[50:51], v[32:33], s[0:1]
	v_mad_u64_u32 v[32:33], s[2:3], s4, v184, 0
	v_mov_b32_e32 v34, v33
	v_mad_u64_u32 v[34:35], s[2:3], s5, v184, v[34:35]
	v_mov_b32_e32 v33, v34
	v_lshl_add_u64 v[34:35], v[54:55], 4, v[52:53]
	v_lshl_add_u64 v[40:41], v[32:33], 4, v[34:35]
	s_waitcnt lgkmcnt(0)
	v_mul_f64 v[32:33], v[30:31], v[46:47]
	v_mul_f64 v[30:31], v[30:31], v[44:45]
	v_fmac_f64_e32 v[32:33], v[28:29], v[44:45]
	v_fma_f64 v[28:29], v[28:29], v[46:47], -v[30:31]
	v_mul_f64 v[34:35], v[28:29], s[0:1]
	ds_read_b128 v[28:31], v187 offset:864
	v_mov_b32_e32 v46, 0x1b0
	v_mul_f64 v[48:49], v[48:49], s[0:1]
	v_mad_u64_u32 v[44:45], s[2:3], s4, v46, v[40:41]
	global_store_dwordx4 v[40:41], v[48:51], off
	s_mul_i32 s2, s5, 0x1b0
	s_waitcnt lgkmcnt(0)
	v_mul_f64 v[40:41], v[18:19], v[30:31]
	v_mul_f64 v[18:19], v[18:19], v[28:29]
	;; [unrolled: 1-line block ×3, first 2 shown]
	v_add_u32_e32 v45, s2, v45
	v_fmac_f64_e32 v[40:41], v[16:17], v[28:29]
	v_fma_f64 v[16:17], v[16:17], v[30:31], -v[18:19]
	global_store_dwordx4 v[44:45], v[32:35], off
	ds_read_b128 v[32:35], v187 offset:1728
	v_mul_f64 v[42:43], v[16:17], s[0:1]
	ds_read_b128 v[16:19], v185 offset:1296
	v_mad_u64_u32 v[44:45], s[6:7], s4, v46, v[44:45]
	v_mul_f64 v[40:41], v[40:41], s[0:1]
	v_add_u32_e32 v45, s2, v45
	global_store_dwordx4 v[44:45], v[40:43], off
	ds_read_b128 v[28:31], v187 offset:3888
	s_waitcnt lgkmcnt(1)
	v_mul_f64 v[40:41], v[2:3], v[18:19]
	v_mul_f64 v[2:3], v[2:3], v[16:17]
	v_fmac_f64_e32 v[40:41], v[0:1], v[16:17]
	v_fma_f64 v[0:1], v[0:1], v[18:19], -v[2:3]
	v_mul_f64 v[42:43], v[0:1], s[0:1]
	v_mad_u64_u32 v[16:17], s[6:7], s4, v46, v[44:45]
	v_mul_f64 v[0:1], v[6:7], v[34:35]
	v_mul_f64 v[2:3], v[6:7], v[32:33]
	v_add_u32_e32 v17, s2, v17
	v_fmac_f64_e32 v[0:1], v[4:5], v[32:33]
	v_fma_f64 v[2:3], v[4:5], v[34:35], -v[2:3]
	ds_read_b128 v[4:7], v187 offset:2160
	v_mad_u64_u32 v[32:33], s[6:7], s4, v46, v[16:17]
	v_mul_f64 v[40:41], v[40:41], s[0:1]
	v_mul_f64 v[0:1], v[0:1], s[0:1]
	;; [unrolled: 1-line block ×3, first 2 shown]
	v_add_u32_e32 v33, s2, v33
	global_store_dwordx4 v[16:17], v[40:43], off
	global_store_dwordx4 v[32:33], v[0:3], off
	ds_read_b128 v[0:3], v187 offset:2592
	s_waitcnt lgkmcnt(1)
	v_mul_f64 v[16:17], v[10:11], v[6:7]
	v_fmac_f64_e32 v[16:17], v[8:9], v[4:5]
	v_mul_f64 v[4:5], v[10:11], v[4:5]
	v_fma_f64 v[4:5], v[8:9], v[6:7], -v[4:5]
	v_mul_f64 v[18:19], v[4:5], s[0:1]
	s_waitcnt lgkmcnt(0)
	v_mul_f64 v[4:5], v[14:15], v[2:3]
	v_fmac_f64_e32 v[4:5], v[12:13], v[0:1]
	v_mul_f64 v[0:1], v[14:15], v[0:1]
	v_mad_u64_u32 v[8:9], s[6:7], s4, v46, v[32:33]
	v_fma_f64 v[0:1], v[12:13], v[2:3], -v[0:1]
	v_add_u32_e32 v9, s2, v9
	v_mul_f64 v[6:7], v[0:1], s[0:1]
	ds_read_b128 v[0:3], v187 offset:3024
	v_mad_u64_u32 v[12:13], s[6:7], s4, v46, v[8:9]
	v_mul_f64 v[16:17], v[16:17], s[0:1]
	v_mul_f64 v[4:5], v[4:5], s[0:1]
	v_add_u32_e32 v13, s2, v13
	global_store_dwordx4 v[8:9], v[16:19], off
	global_store_dwordx4 v[12:13], v[4:7], off
	ds_read_b128 v[4:7], v187 offset:3456
	s_waitcnt lgkmcnt(1)
	v_mul_f64 v[8:9], v[22:23], v[2:3]
	v_fmac_f64_e32 v[8:9], v[20:21], v[0:1]
	v_mul_f64 v[0:1], v[22:23], v[0:1]
	v_fma_f64 v[0:1], v[20:21], v[2:3], -v[0:1]
	v_mad_u64_u32 v[12:13], s[6:7], s4, v46, v[12:13]
	v_mul_f64 v[10:11], v[0:1], s[0:1]
	v_add_u32_e32 v13, s2, v13
	s_waitcnt lgkmcnt(0)
	v_mul_f64 v[0:1], v[26:27], v[6:7]
	v_mul_f64 v[2:3], v[26:27], v[4:5]
	v_fmac_f64_e32 v[0:1], v[24:25], v[4:5]
	v_fma_f64 v[2:3], v[24:25], v[6:7], -v[2:3]
	v_mad_u64_u32 v[4:5], s[6:7], s4, v46, v[12:13]
	v_mul_f64 v[8:9], v[8:9], s[0:1]
	v_mul_f64 v[0:1], v[0:1], s[0:1]
	;; [unrolled: 1-line block ×3, first 2 shown]
	v_add_u32_e32 v5, s2, v5
	global_store_dwordx4 v[12:13], v[8:11], off
	global_store_dwordx4 v[4:5], v[0:3], off
	s_nop 1
	v_mul_f64 v[0:1], v[38:39], v[30:31]
	v_mul_f64 v[2:3], v[38:39], v[28:29]
	v_fmac_f64_e32 v[0:1], v[36:37], v[28:29]
	v_fma_f64 v[2:3], v[36:37], v[30:31], -v[2:3]
	v_mul_f64 v[0:1], v[0:1], s[0:1]
	v_mul_f64 v[2:3], v[2:3], s[0:1]
	v_mad_u64_u32 v[4:5], s[0:1], s4, v46, v[4:5]
	v_add_u32_e32 v5, s2, v5
	global_store_dwordx4 v[4:5], v[0:3], off
.LBB0_26:
	s_endpgm
	.section	.rodata,"a",@progbits
	.p2align	6, 0x0
	.amdhsa_kernel bluestein_single_back_len270_dim1_dp_op_CI_CI
		.amdhsa_group_segment_fixed_size 17280
		.amdhsa_private_segment_fixed_size 0
		.amdhsa_kernarg_size 104
		.amdhsa_user_sgpr_count 2
		.amdhsa_user_sgpr_dispatch_ptr 0
		.amdhsa_user_sgpr_queue_ptr 0
		.amdhsa_user_sgpr_kernarg_segment_ptr 1
		.amdhsa_user_sgpr_dispatch_id 0
		.amdhsa_user_sgpr_kernarg_preload_length 0
		.amdhsa_user_sgpr_kernarg_preload_offset 0
		.amdhsa_user_sgpr_private_segment_size 0
		.amdhsa_uses_dynamic_stack 0
		.amdhsa_enable_private_segment 0
		.amdhsa_system_sgpr_workgroup_id_x 1
		.amdhsa_system_sgpr_workgroup_id_y 0
		.amdhsa_system_sgpr_workgroup_id_z 0
		.amdhsa_system_sgpr_workgroup_info 0
		.amdhsa_system_vgpr_workitem_id 0
		.amdhsa_next_free_vgpr 228
		.amdhsa_next_free_sgpr 22
		.amdhsa_accum_offset 228
		.amdhsa_reserve_vcc 1
		.amdhsa_float_round_mode_32 0
		.amdhsa_float_round_mode_16_64 0
		.amdhsa_float_denorm_mode_32 3
		.amdhsa_float_denorm_mode_16_64 3
		.amdhsa_dx10_clamp 1
		.amdhsa_ieee_mode 1
		.amdhsa_fp16_overflow 0
		.amdhsa_tg_split 0
		.amdhsa_exception_fp_ieee_invalid_op 0
		.amdhsa_exception_fp_denorm_src 0
		.amdhsa_exception_fp_ieee_div_zero 0
		.amdhsa_exception_fp_ieee_overflow 0
		.amdhsa_exception_fp_ieee_underflow 0
		.amdhsa_exception_fp_ieee_inexact 0
		.amdhsa_exception_int_div_zero 0
	.end_amdhsa_kernel
	.text
.Lfunc_end0:
	.size	bluestein_single_back_len270_dim1_dp_op_CI_CI, .Lfunc_end0-bluestein_single_back_len270_dim1_dp_op_CI_CI
                                        ; -- End function
	.section	.AMDGPU.csdata,"",@progbits
; Kernel info:
; codeLenInByte = 11032
; NumSgprs: 28
; NumVgprs: 228
; NumAgprs: 0
; TotalNumVgprs: 228
; ScratchSize: 0
; MemoryBound: 0
; FloatMode: 240
; IeeeMode: 1
; LDSByteSize: 17280 bytes/workgroup (compile time only)
; SGPRBlocks: 3
; VGPRBlocks: 28
; NumSGPRsForWavesPerEU: 28
; NumVGPRsForWavesPerEU: 228
; AccumOffset: 228
; Occupancy: 2
; WaveLimiterHint : 1
; COMPUTE_PGM_RSRC2:SCRATCH_EN: 0
; COMPUTE_PGM_RSRC2:USER_SGPR: 2
; COMPUTE_PGM_RSRC2:TRAP_HANDLER: 0
; COMPUTE_PGM_RSRC2:TGID_X_EN: 1
; COMPUTE_PGM_RSRC2:TGID_Y_EN: 0
; COMPUTE_PGM_RSRC2:TGID_Z_EN: 0
; COMPUTE_PGM_RSRC2:TIDIG_COMP_CNT: 0
; COMPUTE_PGM_RSRC3_GFX90A:ACCUM_OFFSET: 56
; COMPUTE_PGM_RSRC3_GFX90A:TG_SPLIT: 0
	.text
	.p2alignl 6, 3212836864
	.fill 256, 4, 3212836864
	.type	__hip_cuid_a64d7af21ca0faa6,@object ; @__hip_cuid_a64d7af21ca0faa6
	.section	.bss,"aw",@nobits
	.globl	__hip_cuid_a64d7af21ca0faa6
__hip_cuid_a64d7af21ca0faa6:
	.byte	0                               ; 0x0
	.size	__hip_cuid_a64d7af21ca0faa6, 1

	.ident	"AMD clang version 19.0.0git (https://github.com/RadeonOpenCompute/llvm-project roc-6.4.0 25133 c7fe45cf4b819c5991fe208aaa96edf142730f1d)"
	.section	".note.GNU-stack","",@progbits
	.addrsig
	.addrsig_sym __hip_cuid_a64d7af21ca0faa6
	.amdgpu_metadata
---
amdhsa.kernels:
  - .agpr_count:     0
    .args:
      - .actual_access:  read_only
        .address_space:  global
        .offset:         0
        .size:           8
        .value_kind:     global_buffer
      - .actual_access:  read_only
        .address_space:  global
        .offset:         8
        .size:           8
        .value_kind:     global_buffer
      - .actual_access:  read_only
        .address_space:  global
        .offset:         16
        .size:           8
        .value_kind:     global_buffer
      - .actual_access:  read_only
        .address_space:  global
        .offset:         24
        .size:           8
        .value_kind:     global_buffer
      - .actual_access:  read_only
        .address_space:  global
        .offset:         32
        .size:           8
        .value_kind:     global_buffer
      - .offset:         40
        .size:           8
        .value_kind:     by_value
      - .address_space:  global
        .offset:         48
        .size:           8
        .value_kind:     global_buffer
      - .address_space:  global
        .offset:         56
        .size:           8
        .value_kind:     global_buffer
      - .address_space:  global
        .offset:         64
        .size:           8
        .value_kind:     global_buffer
      - .address_space:  global
        .offset:         72
        .size:           8
        .value_kind:     global_buffer
      - .offset:         80
        .size:           4
        .value_kind:     by_value
      - .address_space:  global
        .offset:         88
        .size:           8
        .value_kind:     global_buffer
      - .address_space:  global
        .offset:         96
        .size:           8
        .value_kind:     global_buffer
    .group_segment_fixed_size: 17280
    .kernarg_segment_align: 8
    .kernarg_segment_size: 104
    .language:       OpenCL C
    .language_version:
      - 2
      - 0
    .max_flat_workgroup_size: 108
    .name:           bluestein_single_back_len270_dim1_dp_op_CI_CI
    .private_segment_fixed_size: 0
    .sgpr_count:     28
    .sgpr_spill_count: 0
    .symbol:         bluestein_single_back_len270_dim1_dp_op_CI_CI.kd
    .uniform_work_group_size: 1
    .uses_dynamic_stack: false
    .vgpr_count:     228
    .vgpr_spill_count: 0
    .wavefront_size: 64
amdhsa.target:   amdgcn-amd-amdhsa--gfx950
amdhsa.version:
  - 1
  - 2
...

	.end_amdgpu_metadata
